;; amdgpu-corpus repo=ROCm/rocFFT kind=compiled arch=gfx1201 opt=O3
	.text
	.amdgcn_target "amdgcn-amd-amdhsa--gfx1201"
	.amdhsa_code_object_version 6
	.protected	fft_rtc_fwd_len336_factors_6_7_8_wgs_336_tpt_56_dp_ip_CI_sbcc_twdbase8_3step ; -- Begin function fft_rtc_fwd_len336_factors_6_7_8_wgs_336_tpt_56_dp_ip_CI_sbcc_twdbase8_3step
	.globl	fft_rtc_fwd_len336_factors_6_7_8_wgs_336_tpt_56_dp_ip_CI_sbcc_twdbase8_3step
	.p2align	8
	.type	fft_rtc_fwd_len336_factors_6_7_8_wgs_336_tpt_56_dp_ip_CI_sbcc_twdbase8_3step,@function
fft_rtc_fwd_len336_factors_6_7_8_wgs_336_tpt_56_dp_ip_CI_sbcc_twdbase8_3step: ; @fft_rtc_fwd_len336_factors_6_7_8_wgs_336_tpt_56_dp_ip_CI_sbcc_twdbase8_3step
; %bb.0:
	s_load_b128 s[12:15], s[0:1], 0x18
	s_mov_b32 s21, 0
	s_mov_b32 s2, 0xaaa80000
	s_movk_i32 s3, 0xaa
	s_mov_b32 s20, s21
	s_mov_b64 s[26:27], 0
	s_add_nc_u64 s[4:5], s[20:21], s[2:3]
	s_delay_alu instid0(SALU_CYCLE_1) | instskip(NEXT) | instid1(SALU_CYCLE_1)
	s_add_co_i32 s5, s5, 0x2aaaaa00
	s_mul_u64 s[6:7], s[4:5], -6
	s_delay_alu instid0(SALU_CYCLE_1)
	s_mul_hi_u32 s9, s4, s7
	s_mul_i32 s8, s4, s7
	s_mul_hi_u32 s20, s4, s6
	s_mul_i32 s11, s5, s6
	s_add_nc_u64 s[8:9], s[20:21], s[8:9]
	s_mul_hi_u32 s10, s5, s6
	s_mul_hi_u32 s16, s5, s7
	s_mul_i32 s6, s5, s7
	s_wait_kmcnt 0x0
	s_load_b64 s[2:3], s[12:13], 0x8
	s_add_co_u32 s7, s8, s11
	s_add_co_ci_u32 s20, s9, s10
	s_add_co_ci_u32 s7, s16, 0
	s_delay_alu instid0(SALU_CYCLE_1) | instskip(NEXT) | instid1(SALU_CYCLE_1)
	s_add_nc_u64 s[6:7], s[20:21], s[6:7]
	v_add_co_u32 v1, s4, s4, s6
	s_delay_alu instid0(VALU_DEP_1) | instskip(SKIP_1) | instid1(VALU_DEP_1)
	s_cmp_lg_u32 s4, 0
	s_add_co_ci_u32 s8, s5, s7
	v_readfirstlane_b32 s9, v1
	s_wait_kmcnt 0x0
	s_add_nc_u64 s[4:5], s[2:3], -1
	s_wait_alu 0xfffe
	s_mul_hi_u32 s7, s4, s8
	s_mul_i32 s6, s4, s8
	s_mul_hi_u32 s20, s4, s9
	s_mul_hi_u32 s11, s5, s9
	s_mul_i32 s9, s5, s9
	s_wait_alu 0xfffe
	s_add_nc_u64 s[6:7], s[20:21], s[6:7]
	s_mul_hi_u32 s10, s5, s8
	s_wait_alu 0xfffe
	s_add_co_u32 s6, s6, s9
	s_add_co_ci_u32 s20, s7, s11
	s_mul_i32 s8, s5, s8
	s_add_co_ci_u32 s9, s10, 0
	s_delay_alu instid0(SALU_CYCLE_1) | instskip(SKIP_3) | instid1(SALU_CYCLE_1)
	s_add_nc_u64 s[6:7], s[20:21], s[8:9]
	s_mov_b32 s20, ttmp9
	s_wait_alu 0xfffe
	s_mul_u64 s[8:9], s[6:7], 6
	v_sub_co_u32 v1, s4, s4, s8
	s_delay_alu instid0(VALU_DEP_1) | instskip(SKIP_1) | instid1(VALU_DEP_1)
	s_cmp_lg_u32 s4, 0
	s_sub_co_ci_u32 s10, s5, s9
	v_sub_co_u32 v2, s8, v1, 6
	s_delay_alu instid0(VALU_DEP_1) | instskip(SKIP_2) | instid1(VALU_DEP_2)
	s_cmp_lg_u32 s8, 0
	v_readfirstlane_b32 s16, v1
	s_sub_co_ci_u32 s8, s10, 0
	v_readfirstlane_b32 s4, v2
	s_delay_alu instid0(VALU_DEP_1)
	s_cmp_gt_u32 s4, 5
	s_add_nc_u64 s[4:5], s[6:7], 1
	s_cselect_b32 s11, -1, 0
	s_wait_alu 0xfffe
	s_cmp_eq_u32 s8, 0
	s_add_nc_u64 s[8:9], s[6:7], 2
	s_cselect_b32 s11, s11, -1
	s_delay_alu instid0(SALU_CYCLE_1)
	s_cmp_lg_u32 s11, 0
	s_wait_alu 0xfffe
	s_cselect_b32 s4, s8, s4
	s_cselect_b32 s5, s9, s5
	s_cmp_gt_u32 s16, 5
	s_cselect_b32 s8, -1, 0
	s_cmp_eq_u32 s10, 0
	s_wait_alu 0xfffe
	s_cselect_b32 s8, s8, -1
	s_wait_alu 0xfffe
	s_cmp_lg_u32 s8, 0
	s_cselect_b32 s5, s5, s7
	s_cselect_b32 s4, s4, s6
	s_wait_alu 0xfffe
	s_add_nc_u64 s[22:23], s[4:5], 1
	s_delay_alu instid0(SALU_CYCLE_1) | instskip(NEXT) | instid1(VALU_DEP_1)
	v_cmp_lt_u64_e64 s4, s[20:21], s[22:23]
	s_and_b32 vcc_lo, exec_lo, s4
	s_cbranch_vccnz .LBB0_2
; %bb.1:
	v_cvt_f32_u32_e32 v1, s22
	s_sub_co_i32 s5, 0, s22
	s_mov_b32 s27, s21
	s_delay_alu instid0(VALU_DEP_1) | instskip(NEXT) | instid1(TRANS32_DEP_1)
	v_rcp_iflag_f32_e32 v1, v1
	v_mul_f32_e32 v1, 0x4f7ffffe, v1
	s_delay_alu instid0(VALU_DEP_1) | instskip(NEXT) | instid1(VALU_DEP_1)
	v_cvt_u32_f32_e32 v1, v1
	v_readfirstlane_b32 s4, v1
	s_wait_alu 0xfffe
	s_delay_alu instid0(VALU_DEP_1)
	s_mul_i32 s5, s5, s4
	s_wait_alu 0xfffe
	s_mul_hi_u32 s5, s4, s5
	s_wait_alu 0xfffe
	s_add_co_i32 s4, s4, s5
	s_wait_alu 0xfffe
	s_mul_hi_u32 s4, s20, s4
	s_wait_alu 0xfffe
	s_mul_i32 s5, s4, s22
	s_add_co_i32 s6, s4, 1
	s_wait_alu 0xfffe
	s_sub_co_i32 s5, s20, s5
	s_wait_alu 0xfffe
	s_sub_co_i32 s7, s5, s22
	s_cmp_ge_u32 s5, s22
	s_cselect_b32 s4, s6, s4
	s_wait_alu 0xfffe
	s_cselect_b32 s5, s7, s5
	s_add_co_i32 s6, s4, 1
	s_wait_alu 0xfffe
	s_cmp_ge_u32 s5, s22
	s_cselect_b32 s26, s6, s4
.LBB0_2:
	s_load_b128 s[8:11], s[0:1], 0x8
	s_load_b128 s[4:7], s[14:15], 0x0
	s_load_b64 s[16:17], s[0:1], 0x0
	s_mul_u64 s[18:19], s[26:27], s[22:23]
	s_delay_alu instid0(SALU_CYCLE_1) | instskip(NEXT) | instid1(SALU_CYCLE_1)
	s_sub_nc_u64 s[18:19], s[20:21], s[18:19]
	s_mul_u64 s[18:19], s[18:19], 6
	s_wait_kmcnt 0x0
	v_cmp_lt_u64_e64 s24, s[10:11], 3
	s_delay_alu instid0(VALU_DEP_1)
	s_and_b32 vcc_lo, exec_lo, s24
	s_mul_u64 s[24:25], s[6:7], s[18:19]
	s_cbranch_vccnz .LBB0_12
; %bb.3:
	s_add_nc_u64 s[28:29], s[14:15], 16
	s_add_nc_u64 s[12:13], s[12:13], 16
	s_mov_b64 s[30:31], 2
	s_mov_b32 s34, 0
.LBB0_4:                                ; =>This Inner Loop Header: Depth=1
	s_load_b64 s[36:37], s[12:13], 0x0
                                        ; implicit-def: $sgpr40_sgpr41
	s_wait_kmcnt 0x0
	s_or_b64 s[38:39], s[26:27], s[36:37]
	s_delay_alu instid0(SALU_CYCLE_1)
	s_mov_b32 s35, s39
	s_mov_b32 s39, -1
	s_cmp_lg_u64 s[34:35], 0
	s_cbranch_scc0 .LBB0_6
; %bb.5:                                ;   in Loop: Header=BB0_4 Depth=1
	s_cvt_f32_u32 s33, s36
	s_cvt_f32_u32 s35, s37
	s_sub_nc_u64 s[42:43], 0, s[36:37]
	s_mov_b32 s39, 0
	s_mov_b32 s47, s34
	s_wait_alu 0xfffe
	s_fmamk_f32 s33, s35, 0x4f800000, s33
	s_wait_alu 0xfffe
	s_delay_alu instid0(SALU_CYCLE_2) | instskip(NEXT) | instid1(TRANS32_DEP_1)
	v_s_rcp_f32 s33, s33
	s_mul_f32 s33, s33, 0x5f7ffffc
	s_wait_alu 0xfffe
	s_delay_alu instid0(SALU_CYCLE_2) | instskip(NEXT) | instid1(SALU_CYCLE_3)
	s_mul_f32 s35, s33, 0x2f800000
	s_trunc_f32 s35, s35
	s_delay_alu instid0(SALU_CYCLE_3) | instskip(SKIP_2) | instid1(SALU_CYCLE_1)
	s_fmamk_f32 s33, s35, 0xcf800000, s33
	s_cvt_u32_f32 s41, s35
	s_wait_alu 0xfffe
	s_cvt_u32_f32 s40, s33
	s_wait_alu 0xfffe
	s_delay_alu instid0(SALU_CYCLE_2)
	s_mul_u64 s[44:45], s[42:43], s[40:41]
	s_wait_alu 0xfffe
	s_mul_hi_u32 s49, s40, s45
	s_mul_i32 s48, s40, s45
	s_mul_hi_u32 s38, s40, s44
	s_mul_i32 s35, s41, s44
	s_add_nc_u64 s[48:49], s[38:39], s[48:49]
	s_mul_hi_u32 s33, s41, s44
	s_mul_hi_u32 s50, s41, s45
	s_add_co_u32 s35, s48, s35
	s_wait_alu 0xfffe
	s_add_co_ci_u32 s46, s49, s33
	s_mul_i32 s44, s41, s45
	s_add_co_ci_u32 s45, s50, 0
	s_wait_alu 0xfffe
	s_add_nc_u64 s[44:45], s[46:47], s[44:45]
	s_wait_alu 0xfffe
	v_add_co_u32 v1, s33, s40, s44
	s_delay_alu instid0(VALU_DEP_1) | instskip(SKIP_1) | instid1(VALU_DEP_1)
	s_cmp_lg_u32 s33, 0
	s_add_co_ci_u32 s41, s41, s45
	v_readfirstlane_b32 s40, v1
	s_mov_b32 s45, s34
	s_wait_alu 0xfffe
	s_delay_alu instid0(VALU_DEP_1)
	s_mul_u64 s[42:43], s[42:43], s[40:41]
	s_wait_alu 0xfffe
	s_mul_hi_u32 s47, s40, s43
	s_mul_i32 s46, s40, s43
	s_mul_hi_u32 s38, s40, s42
	s_mul_i32 s35, s41, s42
	s_add_nc_u64 s[46:47], s[38:39], s[46:47]
	s_mul_hi_u32 s33, s41, s42
	s_mul_hi_u32 s40, s41, s43
	s_add_co_u32 s35, s46, s35
	s_wait_alu 0xfffe
	s_add_co_ci_u32 s44, s47, s33
	s_mul_i32 s42, s41, s43
	s_add_co_ci_u32 s43, s40, 0
	s_wait_alu 0xfffe
	s_add_nc_u64 s[42:43], s[44:45], s[42:43]
	s_wait_alu 0xfffe
	v_add_co_u32 v1, s33, v1, s42
	s_delay_alu instid0(VALU_DEP_1) | instskip(SKIP_1) | instid1(VALU_DEP_1)
	s_cmp_lg_u32 s33, 0
	s_add_co_ci_u32 s33, s41, s43
	v_readfirstlane_b32 s35, v1
	s_wait_alu 0xfffe
	s_mul_hi_u32 s41, s26, s33
	s_mul_i32 s40, s26, s33
	s_mul_hi_u32 s43, s27, s33
	s_mul_i32 s42, s27, s33
	;; [unrolled: 2-line block ×3, first 2 shown]
	s_wait_alu 0xfffe
	s_add_nc_u64 s[40:41], s[38:39], s[40:41]
	s_mul_hi_u32 s35, s27, s35
	s_wait_alu 0xfffe
	s_add_co_u32 s33, s40, s33
	s_add_co_ci_u32 s44, s41, s35
	s_add_co_ci_u32 s43, s43, 0
	s_wait_alu 0xfffe
	s_add_nc_u64 s[40:41], s[44:45], s[42:43]
	s_wait_alu 0xfffe
	s_mul_u64 s[42:43], s[36:37], s[40:41]
	s_add_nc_u64 s[44:45], s[40:41], 1
	s_wait_alu 0xfffe
	v_sub_co_u32 v1, s33, s26, s42
	s_sub_co_i32 s35, s27, s43
	s_cmp_lg_u32 s33, 0
	s_add_nc_u64 s[46:47], s[40:41], 2
	s_delay_alu instid0(VALU_DEP_1) | instskip(SKIP_2) | instid1(VALU_DEP_1)
	v_sub_co_u32 v2, s38, v1, s36
	s_sub_co_ci_u32 s35, s35, s37
	s_cmp_lg_u32 s38, 0
	v_readfirstlane_b32 s38, v2
	s_sub_co_ci_u32 s35, s35, 0
	s_delay_alu instid0(SALU_CYCLE_1) | instskip(SKIP_1) | instid1(VALU_DEP_1)
	s_cmp_ge_u32 s35, s37
	s_cselect_b32 s42, -1, 0
	s_cmp_ge_u32 s38, s36
	s_cselect_b32 s38, -1, 0
	s_cmp_eq_u32 s35, s37
	s_wait_alu 0xfffe
	s_cselect_b32 s35, s38, s42
	s_delay_alu instid0(SALU_CYCLE_1)
	s_cmp_lg_u32 s35, 0
	s_cselect_b32 s35, s46, s44
	s_cselect_b32 s38, s47, s45
	s_cmp_lg_u32 s33, 0
	v_readfirstlane_b32 s33, v1
	s_sub_co_ci_u32 s42, s27, s43
	s_wait_alu 0xfffe
	s_cmp_ge_u32 s42, s37
	s_cselect_b32 s43, -1, 0
	s_cmp_ge_u32 s33, s36
	s_cselect_b32 s33, -1, 0
	s_cmp_eq_u32 s42, s37
	s_wait_alu 0xfffe
	s_cselect_b32 s33, s33, s43
	s_wait_alu 0xfffe
	s_cmp_lg_u32 s33, 0
	s_cselect_b32 s41, s38, s41
	s_cselect_b32 s40, s35, s40
.LBB0_6:                                ;   in Loop: Header=BB0_4 Depth=1
	s_and_not1_b32 vcc_lo, exec_lo, s39
	s_cbranch_vccnz .LBB0_8
; %bb.7:                                ;   in Loop: Header=BB0_4 Depth=1
	v_cvt_f32_u32_e32 v1, s36
	s_sub_co_i32 s35, 0, s36
	s_mov_b32 s41, s34
	s_delay_alu instid0(VALU_DEP_1) | instskip(NEXT) | instid1(TRANS32_DEP_1)
	v_rcp_iflag_f32_e32 v1, v1
	v_mul_f32_e32 v1, 0x4f7ffffe, v1
	s_delay_alu instid0(VALU_DEP_1) | instskip(NEXT) | instid1(VALU_DEP_1)
	v_cvt_u32_f32_e32 v1, v1
	v_readfirstlane_b32 s33, v1
	s_delay_alu instid0(VALU_DEP_1) | instskip(NEXT) | instid1(SALU_CYCLE_1)
	s_mul_i32 s35, s35, s33
	s_mul_hi_u32 s35, s33, s35
	s_delay_alu instid0(SALU_CYCLE_1)
	s_add_co_i32 s33, s33, s35
	s_wait_alu 0xfffe
	s_mul_hi_u32 s33, s26, s33
	s_wait_alu 0xfffe
	s_mul_i32 s35, s33, s36
	s_add_co_i32 s38, s33, 1
	s_sub_co_i32 s35, s26, s35
	s_delay_alu instid0(SALU_CYCLE_1)
	s_sub_co_i32 s39, s35, s36
	s_cmp_ge_u32 s35, s36
	s_cselect_b32 s33, s38, s33
	s_cselect_b32 s35, s39, s35
	s_wait_alu 0xfffe
	s_add_co_i32 s38, s33, 1
	s_cmp_ge_u32 s35, s36
	s_cselect_b32 s40, s38, s33
.LBB0_8:                                ;   in Loop: Header=BB0_4 Depth=1
	s_load_b64 s[38:39], s[28:29], 0x0
	s_add_nc_u64 s[30:31], s[30:31], 1
	s_mul_u64 s[22:23], s[36:37], s[22:23]
	s_wait_alu 0xfffe
	v_cmp_ge_u64_e64 s33, s[30:31], s[10:11]
	s_mul_u64 s[36:37], s[40:41], s[36:37]
	s_add_nc_u64 s[28:29], s[28:29], 8
	s_wait_alu 0xfffe
	s_sub_nc_u64 s[26:27], s[26:27], s[36:37]
	s_add_nc_u64 s[12:13], s[12:13], 8
	s_and_b32 vcc_lo, exec_lo, s33
	s_wait_kmcnt 0x0
	s_wait_alu 0xfffe
	s_mul_u64 s[26:27], s[38:39], s[26:27]
	s_wait_alu 0xfffe
	s_add_nc_u64 s[24:25], s[26:27], s[24:25]
	s_cbranch_vccnz .LBB0_10
; %bb.9:                                ;   in Loop: Header=BB0_4 Depth=1
	s_mov_b64 s[26:27], s[40:41]
	s_branch .LBB0_4
.LBB0_10:
	v_cmp_lt_u64_e64 s12, s[20:21], s[22:23]
	s_mov_b64 s[26:27], 0
	s_delay_alu instid0(VALU_DEP_1)
	s_and_b32 vcc_lo, exec_lo, s12
	s_cbranch_vccnz .LBB0_12
; %bb.11:
	v_cvt_f32_u32_e32 v1, s22
	s_sub_co_i32 s13, 0, s22
	s_mov_b32 s27, 0
	s_delay_alu instid0(VALU_DEP_1) | instskip(NEXT) | instid1(TRANS32_DEP_1)
	v_rcp_iflag_f32_e32 v1, v1
	v_mul_f32_e32 v1, 0x4f7ffffe, v1
	s_delay_alu instid0(VALU_DEP_1) | instskip(NEXT) | instid1(VALU_DEP_1)
	v_cvt_u32_f32_e32 v1, v1
	v_readfirstlane_b32 s12, v1
	s_delay_alu instid0(VALU_DEP_1) | instskip(NEXT) | instid1(SALU_CYCLE_1)
	s_mul_i32 s13, s13, s12
	s_mul_hi_u32 s13, s12, s13
	s_delay_alu instid0(SALU_CYCLE_1) | instskip(NEXT) | instid1(SALU_CYCLE_1)
	s_add_co_i32 s12, s12, s13
	s_mul_hi_u32 s12, s20, s12
	s_delay_alu instid0(SALU_CYCLE_1) | instskip(NEXT) | instid1(SALU_CYCLE_1)
	s_mul_i32 s13, s12, s22
	s_sub_co_i32 s13, s20, s13
	s_add_co_i32 s20, s12, 1
	s_sub_co_i32 s21, s13, s22
	s_cmp_ge_u32 s13, s22
	s_wait_alu 0xfffe
	s_cselect_b32 s12, s20, s12
	s_cselect_b32 s13, s21, s13
	s_add_co_i32 s20, s12, 1
	s_cmp_ge_u32 s13, s22
	s_wait_alu 0xfffe
	s_cselect_b32 s26, s20, s12
.LBB0_12:
	v_mul_u32_u24_e32 v1, 0x2aab, v0
	s_lshl_b64 s[10:11], s[10:11], 3
	s_load_b64 s[0:1], s[0:1], 0x58
	s_add_nc_u64 s[10:11], s[14:15], s[10:11]
	s_add_nc_u64 s[12:13], s[18:19], 6
	v_lshrrev_b32_e32 v132, 16, v1
	s_load_b64 s[10:11], s[10:11], 0x0
	v_cmp_le_u64_e64 s12, s[12:13], s[2:3]
	s_delay_alu instid0(VALU_DEP_2)
	v_mul_lo_u16 v1, v132, 6
	v_lshlrev_b32_e32 v135, 4, v132
	v_add_nc_u32_e32 v133, 56, v132
	v_add_nc_u32_e32 v131, 0x70, v132
	v_add_nc_u32_e32 v129, 0xa8, v132
	v_sub_nc_u16 v1, v0, v1
	v_add_nc_u32_e32 v130, 0xe0, v132
	v_add_nc_u32_e32 v128, 0x118, v132
	s_delay_alu instid0(VALU_DEP_3) | instskip(NEXT) | instid1(VALU_DEP_1)
	v_and_b32_e32 v134, 0xffff, v1
	v_add_co_u32 v1, s13, s18, v134
	s_wait_alu 0xf1ff
	v_add_co_ci_u32_e64 v2, null, s19, 0, s13
	v_mul_u32_u24_e32 v136, 0x1500, v134
	s_wait_kmcnt 0x0
	s_mul_u64 s[10:11], s[10:11], s[26:27]
	s_delay_alu instid0(VALU_DEP_2)
	v_cmp_gt_u64_e32 vcc_lo, s[2:3], v[1:2]
	s_wait_alu 0xfffe
	s_add_nc_u64 s[2:3], s[10:11], s[24:25]
	s_mov_b32 s10, 0
	s_or_b32 s12, s12, vcc_lo
	s_wait_alu 0xfffe
	s_and_saveexec_b32 s11, s12
	s_cbranch_execz .LBB0_14
; %bb.13:
	v_mad_co_u64_u32 v[1:2], null, s6, v134, 0
	v_mad_co_u64_u32 v[3:4], null, s4, v132, 0
	;; [unrolled: 1-line block ×5, first 2 shown]
	s_delay_alu instid0(VALU_DEP_4) | instskip(NEXT) | instid1(VALU_DEP_4)
	v_mad_co_u64_u32 v[9:10], null, s7, v134, v[2:3]
	v_mad_co_u64_u32 v[10:11], null, s5, v132, v[4:5]
	;; [unrolled: 1-line block ×3, first 2 shown]
	v_mov_b32_e32 v2, v6
	s_lshl_b64 s[14:15], s[2:3], 4
	v_add3_u32 v25, 0, v136, v135
	s_add_nc_u64 s[14:15], s[0:1], s[14:15]
	s_delay_alu instid0(VALU_DEP_4) | instskip(SKIP_2) | instid1(VALU_DEP_3)
	v_mov_b32_e32 v4, v10
	v_mad_co_u64_u32 v[13:14], null, s5, v133, v[2:3]
	v_dual_mov_b32 v2, v9 :: v_dual_mov_b32 v9, v12
	v_lshlrev_b64_e32 v[3:4], 4, v[3:4]
	s_delay_alu instid0(VALU_DEP_2) | instskip(NEXT) | instid1(VALU_DEP_4)
	v_lshlrev_b64_e32 v[1:2], 4, v[1:2]
	v_mov_b32_e32 v6, v13
	v_mad_co_u64_u32 v[13:14], null, s4, v130, 0
	s_delay_alu instid0(VALU_DEP_3) | instskip(NEXT) | instid1(VALU_DEP_4)
	v_add_co_u32 v21, vcc_lo, s14, v1
	v_add_co_ci_u32_e32 v22, vcc_lo, s15, v2, vcc_lo
	v_mad_co_u64_u32 v[1:2], null, s5, v131, v[8:9]
	v_mad_co_u64_u32 v[9:10], null, s5, v129, v[9:10]
	s_delay_alu instid0(VALU_DEP_4)
	v_add_co_u32 v2, vcc_lo, v21, v3
	v_lshlrev_b64_e32 v[5:6], 4, v[5:6]
	s_wait_alu 0xfffd
	v_add_co_ci_u32_e32 v3, vcc_lo, v22, v4, vcc_lo
	v_mov_b32_e32 v4, v14
	v_dual_mov_b32 v8, v1 :: v_dual_mov_b32 v1, v16
	v_mov_b32_e32 v12, v9
	s_delay_alu instid0(VALU_DEP_3) | instskip(NEXT) | instid1(VALU_DEP_3)
	v_mad_co_u64_u32 v[9:10], null, s5, v130, v[4:5]
	v_lshlrev_b64_e32 v[7:8], 4, v[7:8]
	v_add_co_u32 v5, vcc_lo, v21, v5
	v_mad_co_u64_u32 v[16:17], null, s5, v128, v[1:2]
	s_wait_alu 0xfffd
	v_add_co_ci_u32_e32 v6, vcc_lo, v22, v6, vcc_lo
	v_mov_b32_e32 v14, v9
	v_lshlrev_b64_e32 v[10:11], 4, v[11:12]
	v_add_co_u32 v17, vcc_lo, v21, v7
	s_wait_alu 0xfffd
	v_add_co_ci_u32_e32 v18, vcc_lo, v22, v8, vcc_lo
	v_lshlrev_b64_e32 v[7:8], 4, v[13:14]
	s_delay_alu instid0(VALU_DEP_4) | instskip(SKIP_3) | instid1(VALU_DEP_4)
	v_add_co_u32 v13, vcc_lo, v21, v10
	v_lshlrev_b64_e32 v[9:10], 4, v[15:16]
	s_wait_alu 0xfffd
	v_add_co_ci_u32_e32 v14, vcc_lo, v22, v11, vcc_lo
	v_add_co_u32 v19, vcc_lo, v21, v7
	s_wait_alu 0xfffd
	v_add_co_ci_u32_e32 v20, vcc_lo, v22, v8, vcc_lo
	v_add_co_u32 v21, vcc_lo, v21, v9
	s_wait_alu 0xfffd
	v_add_co_ci_u32_e32 v22, vcc_lo, v22, v10, vcc_lo
	s_clause 0x5
	global_load_b128 v[1:4], v[2:3], off
	global_load_b128 v[5:8], v[5:6], off
	;; [unrolled: 1-line block ×6, first 2 shown]
	s_wait_loadcnt 0x5
	ds_store_b128 v25, v[1:4]
	s_wait_loadcnt 0x4
	ds_store_b128 v25, v[5:8] offset:896
	s_wait_loadcnt 0x3
	ds_store_b128 v25, v[9:12] offset:1792
	;; [unrolled: 2-line block ×5, first 2 shown]
.LBB0_14:
	s_wait_alu 0xfffe
	s_or_b32 exec_lo, exec_lo, s11
	s_mov_b32 s14, 0xaaa80000
	s_movk_i32 s15, 0xaa
	s_mov_b32 s11, s10
	v_and_b32_e32 v1, 0xffff, v0
	s_wait_alu 0xfffe
	s_add_nc_u64 s[14:15], s[10:11], s[14:15]
	s_mov_b32 s25, s10
	s_wait_alu 0xfffe
	s_add_co_i32 s15, s15, 0x2aaaaa00
	global_wb scope:SCOPE_SE
	s_wait_dscnt 0x0
	s_wait_alu 0xfffe
	s_mul_u64 s[20:21], s[14:15], -6
	v_mul_u32_u24_e32 v1, 0x493, v1
	s_wait_alu 0xfffe
	s_mul_hi_u32 s23, s14, s21
	s_mul_i32 s22, s14, s21
	s_mul_hi_u32 s24, s14, s20
	s_mul_i32 s13, s15, s20
	s_wait_alu 0xfffe
	s_add_nc_u64 s[22:23], s[24:25], s[22:23]
	s_mul_hi_u32 s11, s15, s20
	s_mul_hi_u32 s24, s15, s21
	s_wait_alu 0xfffe
	s_add_co_u32 s13, s22, s13
	s_add_co_ci_u32 s20, s23, s11
	s_add_co_ci_u32 s23, s24, 0
	s_mul_i32 s22, s15, s21
	s_mov_b32 s21, s10
	v_lshrrev_b32_e32 v5, 16, v1
	s_wait_alu 0xfffe
	s_add_nc_u64 s[10:11], s[20:21], s[22:23]
	s_barrier_signal -1
	s_wait_alu 0xfffe
	v_add_co_u32 v3, s10, s14, s10
	s_delay_alu instid0(VALU_DEP_1) | instskip(SKIP_4) | instid1(VALU_DEP_2)
	s_cmp_lg_u32 s10, 0
	v_add_co_u32 v60, s10, s18, v5
	s_wait_alu 0xf1ff
	v_add_co_ci_u32_e64 v6, null, s19, 0, s10
	s_add_co_ci_u32 s10, s15, s11
	v_mul_hi_u32 v7, v60, v3
	s_wait_alu 0xfffe
	v_mad_co_u64_u32 v[1:2], null, v60, s10, 0
	v_mad_co_u64_u32 v[3:4], null, v6, v3, 0
	v_mul_lo_u16 v5, v5, 56
	s_barrier_wait -1
	global_inv scope:SCOPE_SE
	s_mov_b32 s15, 0xbfebb67a
	v_add_co_u32 v7, vcc_lo, v7, v1
	s_wait_alu 0xfffd
	v_add_co_ci_u32_e32 v8, vcc_lo, 0, v2, vcc_lo
	v_mad_co_u64_u32 v[1:2], null, v6, s10, 0
	s_delay_alu instid0(VALU_DEP_3) | instskip(SKIP_1) | instid1(VALU_DEP_3)
	v_add_co_u32 v3, vcc_lo, v7, v3
	s_wait_alu 0xfffd
	v_add_co_ci_u32_e32 v3, vcc_lo, v8, v4, vcc_lo
	v_sub_nc_u16 v44, v0, v5
	s_mov_b32 s10, 0xe8584caa
	s_wait_alu 0xfffd
	s_delay_alu instid0(VALU_DEP_4) | instskip(SKIP_3) | instid1(VALU_DEP_3)
	v_add_co_ci_u32_e32 v2, vcc_lo, 0, v2, vcc_lo
	v_add_co_u32 v1, vcc_lo, v3, v1
	v_and_b32_e32 v28, 0xffff, v44
	s_wait_alu 0xfffd
	v_add_co_ci_u32_e32 v3, vcc_lo, 0, v2, vcc_lo
	s_delay_alu instid0(VALU_DEP_3) | instskip(NEXT) | instid1(VALU_DEP_3)
	v_mad_co_u64_u32 v[1:2], null, v1, 6, 0
	v_lshlrev_b32_e32 v38, 4, v28
	s_mov_b32 s11, 0x3febb67a
	s_wait_alu 0xfffe
	s_mov_b32 s14, s10
	s_delay_alu instid0(VALU_DEP_2) | instskip(NEXT) | instid1(VALU_DEP_3)
	v_mad_co_u64_u32 v[2:3], null, v3, 6, v[2:3]
	v_sub_co_u32 v1, vcc_lo, v60, v1
	s_wait_alu 0xfffd
	s_delay_alu instid0(VALU_DEP_2) | instskip(NEXT) | instid1(VALU_DEP_2)
	v_sub_co_ci_u32_e32 v2, vcc_lo, v6, v2, vcc_lo
	v_sub_co_u32 v3, vcc_lo, v1, 6
	s_wait_alu 0xfffd
	s_delay_alu instid0(VALU_DEP_2) | instskip(NEXT) | instid1(VALU_DEP_2)
	v_subrev_co_ci_u32_e32 v4, vcc_lo, 0, v2, vcc_lo
	v_cmp_lt_u32_e32 vcc_lo, 5, v3
	s_wait_alu 0xfffd
	v_cndmask_b32_e64 v6, 0, -1, vcc_lo
	v_cmp_lt_u32_e32 vcc_lo, 5, v1
	s_wait_alu 0xfffd
	v_cndmask_b32_e64 v7, 0, -1, vcc_lo
	v_cmp_eq_u32_e32 vcc_lo, 0, v4
	s_wait_alu 0xfffd
	v_cndmask_b32_e32 v4, -1, v6, vcc_lo
	v_cmp_eq_u32_e32 vcc_lo, 0, v2
	v_add_nc_u32_e32 v6, -6, v3
	s_wait_alu 0xfffd
	v_cndmask_b32_e32 v2, -1, v7, vcc_lo
	v_cmp_ne_u32_e32 vcc_lo, 0, v4
	s_wait_alu 0xfffd
	v_cndmask_b32_e32 v3, v3, v6, vcc_lo
	s_delay_alu instid0(VALU_DEP_3) | instskip(SKIP_1) | instid1(VALU_DEP_2)
	v_cmp_ne_u32_e32 vcc_lo, 0, v2
	s_wait_alu 0xfffd
	v_cndmask_b32_e32 v0, v1, v3, vcc_lo
	v_cmp_gt_u16_e32 vcc_lo, 48, v44
	s_delay_alu instid0(VALU_DEP_2) | instskip(NEXT) | instid1(VALU_DEP_1)
	v_mul_u32_u24_e32 v0, 0x150, v0
	v_lshlrev_b32_e32 v29, 4, v0
	s_delay_alu instid0(VALU_DEP_1)
	v_add3_u32 v137, 0, v38, v29
	ds_load_b128 v[0:3], v137 offset:2688
	ds_load_b128 v[4:7], v137 offset:4480
	;; [unrolled: 1-line block ×3, first 2 shown]
	v_add3_u32 v138, 0, v29, v38
	s_wait_dscnt 0x1
	v_add_f64_e32 v[12:13], v[2:3], v[6:7]
	v_add_f64_e32 v[14:15], v[0:1], v[4:5]
	v_add_f64_e64 v[20:21], v[2:3], -v[6:7]
	v_add_f64_e64 v[22:23], v[0:1], -v[4:5]
	s_wait_dscnt 0x0
	v_add_f64_e32 v[0:1], v[8:9], v[0:1]
	v_add_f64_e32 v[2:3], v[10:11], v[2:3]
	v_fma_f64 v[24:25], v[12:13], -0.5, v[10:11]
	v_fma_f64 v[26:27], v[14:15], -0.5, v[8:9]
	ds_load_b128 v[12:15], v137 offset:1792
	ds_load_b128 v[16:19], v137 offset:3584
	v_add_f64_e32 v[4:5], v[0:1], v[4:5]
	v_add_f64_e32 v[6:7], v[2:3], v[6:7]
	s_wait_dscnt 0x0
	v_add_f64_e32 v[30:31], v[12:13], v[16:17]
	v_add_f64_e32 v[32:33], v[14:15], v[18:19]
	v_add_f64_e64 v[40:41], v[14:15], -v[18:19]
	v_add_f64_e64 v[10:11], v[12:13], -v[16:17]
	s_wait_alu 0xfffe
	v_fma_f64 v[34:35], v[22:23], s[14:15], v[24:25]
	v_fma_f64 v[36:37], v[20:21], s[14:15], v[26:27]
	;; [unrolled: 1-line block ×4, first 2 shown]
	ds_load_b128 v[20:23], v138
	global_wb scope:SCOPE_SE
	s_wait_dscnt 0x0
	s_barrier_signal -1
	s_barrier_wait -1
	global_inv scope:SCOPE_SE
	v_add_f64_e32 v[38:39], v[20:21], v[12:13]
	v_add_f64_e32 v[14:15], v[22:23], v[14:15]
	v_fma_f64 v[8:9], v[30:31], -0.5, v[20:21]
	v_fma_f64 v[12:13], v[32:33], -0.5, v[22:23]
	v_mul_f64_e32 v[20:21], s[10:11], v[34:35]
	v_mul_f64_e32 v[22:23], -0.5, v[36:37]
	v_mul_f64_e32 v[30:31], s[14:15], v[26:27]
	v_mul_f64_e32 v[32:33], -0.5, v[24:25]
	v_add_f64_e32 v[16:17], v[38:39], v[16:17]
	v_add_f64_e32 v[14:15], v[14:15], v[18:19]
	v_fma_f64 v[18:19], v[40:41], s[10:11], v[8:9]
	v_fma_f64 v[38:39], v[40:41], s[14:15], v[8:9]
	;; [unrolled: 1-line block ×4, first 2 shown]
	v_fma_f64 v[20:21], v[26:27], 0.5, v[20:21]
	v_fma_f64 v[22:23], v[24:25], s[10:11], v[22:23]
	v_fma_f64 v[24:25], v[34:35], 0.5, v[30:31]
	v_fma_f64 v[26:27], v[36:37], s[14:15], v[32:33]
	v_add_f64_e32 v[0:1], v[16:17], v[4:5]
	v_add_f64_e32 v[2:3], v[14:15], v[6:7]
	v_add_f64_e64 v[8:9], v[16:17], -v[4:5]
	v_add_f64_e64 v[10:11], v[14:15], -v[6:7]
	v_add_f64_e32 v[4:5], v[18:19], v[20:21]
	v_add_f64_e32 v[12:13], v[38:39], v[22:23]
	;; [unrolled: 1-line block ×4, first 2 shown]
	v_add_f64_e64 v[16:17], v[18:19], -v[20:21]
	v_add_f64_e64 v[20:21], v[38:39], -v[22:23]
	;; [unrolled: 1-line block ×4, first 2 shown]
                                        ; kill: def $vgpr24_vgpr25 killed $sgpr0_sgpr1 killed $exec
                                        ; implicit-def: $vgpr26_vgpr27
	v_mad_u32_u24 v24, 0x50, v28, v137
	ds_store_b128 v24, v[0:3]
	ds_store_b128 v24, v[4:7] offset:16
	ds_store_b128 v24, v[12:15] offset:32
	;; [unrolled: 1-line block ×5, first 2 shown]
	global_wb scope:SCOPE_SE
	s_wait_dscnt 0x0
	s_barrier_signal -1
	s_barrier_wait -1
	global_inv scope:SCOPE_SE
	s_and_saveexec_b32 s10, vcc_lo
	s_cbranch_execz .LBB0_16
; %bb.15:
	ds_load_b128 v[0:3], v138
	ds_load_b128 v[4:7], v137 offset:768
	ds_load_b128 v[12:15], v137 offset:1536
	ds_load_b128 v[8:11], v137 offset:2304
	ds_load_b128 v[16:19], v137 offset:3072
	ds_load_b128 v[20:23], v137 offset:3840
	ds_load_b128 v[24:27], v137 offset:4608
.LBB0_16:
	s_wait_alu 0xfffe
	s_or_b32 exec_lo, exec_lo, s10
	v_and_b32_e32 v30, 0xff, v28
	s_mov_b32 s10, 0x37e14327
	s_mov_b32 s11, 0x3fe948f6
	;; [unrolled: 1-line block ×4, first 2 shown]
	v_mul_lo_u16 v30, 0xab, v30
	s_mov_b32 s15, 0x3fac98ee
	s_mov_b32 s19, 0xbfe11646
	;; [unrolled: 1-line block ×4, first 2 shown]
	v_lshrrev_b16 v30, 10, v30
	s_mov_b32 s23, 0x3fd5d0dc
	s_mov_b32 s22, 0xb247c609
	s_delay_alu instid0(VALU_DEP_1) | instskip(NEXT) | instid1(VALU_DEP_1)
	v_mul_lo_u16 v31, v30, 6
	v_sub_nc_u16 v31, v28, v31
	s_delay_alu instid0(VALU_DEP_1) | instskip(NEXT) | instid1(VALU_DEP_1)
	v_and_b32_e32 v31, 0xff, v31
	v_mul_u32_u24_e32 v32, 6, v31
	s_delay_alu instid0(VALU_DEP_1)
	v_lshlrev_b32_e32 v52, 4, v32
	s_clause 0x5
	global_load_b128 v[32:35], v52, s[16:17]
	global_load_b128 v[36:39], v52, s[16:17] offset:16
	global_load_b128 v[40:43], v52, s[16:17] offset:80
	;; [unrolled: 1-line block ×5, first 2 shown]
	global_wb scope:SCOPE_SE
	s_wait_loadcnt_dscnt 0x0
	s_barrier_signal -1
	s_barrier_wait -1
	global_inv scope:SCOPE_SE
	v_mul_f64_e32 v[56:57], v[6:7], v[34:35]
	v_mul_f64_e32 v[34:35], v[4:5], v[34:35]
	;; [unrolled: 1-line block ×12, first 2 shown]
	v_fma_f64 v[4:5], v[4:5], v[32:33], -v[56:57]
	v_fma_f64 v[6:7], v[6:7], v[32:33], v[34:35]
	v_fma_f64 v[12:13], v[12:13], v[36:37], -v[58:59]
	v_fma_f64 v[14:15], v[14:15], v[36:37], v[38:39]
	v_fma_f64 v[24:25], v[24:25], v[40:41], -v[61:62]
	v_fma_f64 v[26:27], v[26:27], v[40:41], v[42:43]
	v_fma_f64 v[20:21], v[20:21], v[44:45], -v[63:64]
	v_fma_f64 v[22:23], v[22:23], v[44:45], v[46:47]
	v_fma_f64 v[8:9], v[8:9], v[48:49], -v[65:66]
	v_fma_f64 v[10:11], v[10:11], v[48:49], v[50:51]
	v_fma_f64 v[16:17], v[16:17], v[52:53], -v[67:68]
	v_fma_f64 v[18:19], v[18:19], v[52:53], v[54:55]
	v_add_f64_e32 v[32:33], v[4:5], v[24:25]
	v_add_f64_e32 v[34:35], v[6:7], v[26:27]
	;; [unrolled: 1-line block ×4, first 2 shown]
	v_add_f64_e64 v[12:13], v[12:13], -v[20:21]
	v_add_f64_e64 v[14:15], v[14:15], -v[22:23]
	v_add_f64_e32 v[40:41], v[8:9], v[16:17]
	v_add_f64_e32 v[42:43], v[10:11], v[18:19]
	v_add_f64_e64 v[8:9], v[16:17], -v[8:9]
	v_add_f64_e64 v[10:11], v[18:19], -v[10:11]
	;; [unrolled: 1-line block ×4, first 2 shown]
	v_add_f64_e32 v[16:17], v[36:37], v[32:33]
	v_add_f64_e32 v[18:19], v[38:39], v[34:35]
	v_add_f64_e64 v[20:21], v[32:33], -v[40:41]
	v_add_f64_e64 v[22:23], v[34:35], -v[42:43]
	;; [unrolled: 1-line block ×10, first 2 shown]
	v_add_f64_e32 v[12:13], v[8:9], v[12:13]
	v_add_f64_e32 v[14:15], v[10:11], v[14:15]
	v_add_f64_e64 v[8:9], v[4:5], -v[8:9]
	v_add_f64_e64 v[10:11], v[6:7], -v[10:11]
	v_add_f64_e32 v[16:17], v[40:41], v[16:17]
	v_add_f64_e32 v[18:19], v[42:43], v[18:19]
	s_wait_alu 0xfffe
	v_mul_f64_e32 v[20:21], s[10:11], v[20:21]
	v_mul_f64_e32 v[22:23], s[10:11], v[22:23]
	s_mov_b32 s10, 0x429ad128
	v_mul_f64_e32 v[36:37], s[14:15], v[24:25]
	v_mul_f64_e32 v[38:39], s[14:15], v[26:27]
	;; [unrolled: 1-line block ×4, first 2 shown]
	s_mov_b32 s11, 0x3febfeb5
	s_mov_b32 s18, 0xaaaaaaaa
	s_wait_alu 0xfffe
	v_mul_f64_e32 v[44:45], s[10:11], v[48:49]
	v_mul_f64_e32 v[46:47], s[10:11], v[50:51]
	s_mov_b32 s19, 0xbff2aaaa
	v_add_f64_e32 v[4:5], v[12:13], v[4:5]
	v_add_f64_e32 v[6:7], v[14:15], v[6:7]
	;; [unrolled: 1-line block ×4, first 2 shown]
	v_fma_f64 v[12:13], v[24:25], s[14:15], v[20:21]
	v_fma_f64 v[14:15], v[26:27], s[14:15], v[22:23]
	v_fma_f64 v[24:25], v[32:33], s[20:21], -v[36:37]
	v_fma_f64 v[26:27], v[34:35], s[20:21], -v[38:39]
	s_mov_b32 s21, 0xbfe77f67
	v_fma_f64 v[36:37], v[8:9], s[22:23], v[40:41]
	v_fma_f64 v[38:39], v[10:11], s[22:23], v[42:43]
	s_mov_b32 s23, 0xbfd5d0dc
	v_fma_f64 v[40:41], v[48:49], s[10:11], -v[40:41]
	v_fma_f64 v[42:43], v[50:51], s[10:11], -v[42:43]
	s_wait_alu 0xfffe
	v_fma_f64 v[8:9], v[8:9], s[22:23], -v[44:45]
	v_fma_f64 v[10:11], v[10:11], s[22:23], -v[46:47]
	;; [unrolled: 1-line block ×4, first 2 shown]
	s_mov_b32 s10, 0x37c3f68c
	s_mov_b32 s11, 0x3fdc38aa
	v_fma_f64 v[16:17], v[16:17], s[18:19], v[0:1]
	v_fma_f64 v[18:19], v[18:19], s[18:19], v[2:3]
	s_wait_alu 0xfffe
	v_fma_f64 v[36:37], v[4:5], s[10:11], v[36:37]
	v_fma_f64 v[38:39], v[6:7], s[10:11], v[38:39]
	;; [unrolled: 1-line block ×6, first 2 shown]
	v_add_f64_e32 v[8:9], v[12:13], v[16:17]
	v_add_f64_e32 v[10:11], v[14:15], v[18:19]
	v_add_f64_e32 v[12:13], v[20:21], v[16:17]
	v_add_f64_e32 v[14:15], v[22:23], v[18:19]
	v_add_f64_e32 v[16:17], v[24:25], v[16:17]
	v_add_f64_e32 v[18:19], v[26:27], v[18:19]
	v_add_f64_e32 v[32:33], v[38:39], v[8:9]
	v_add_f64_e64 v[34:35], v[10:11], -v[36:37]
	v_add_f64_e32 v[20:21], v[6:7], v[12:13]
	v_add_f64_e64 v[22:23], v[14:15], -v[4:5]
	v_add_f64_e64 v[56:57], v[16:17], -v[42:43]
	v_add_f64_e32 v[58:59], v[40:41], v[18:19]
	v_add_f64_e32 v[72:73], v[42:43], v[16:17]
	v_add_f64_e64 v[74:75], v[18:19], -v[40:41]
	v_add_f64_e64 v[68:69], v[12:13], -v[6:7]
	v_add_f64_e32 v[70:71], v[4:5], v[14:15]
	v_add_f64_e64 v[80:81], v[8:9], -v[38:39]
	v_add_f64_e32 v[82:83], v[36:37], v[10:11]
	s_and_saveexec_b32 s10, vcc_lo
	s_cbranch_execz .LBB0_18
; %bb.17:
	v_and_b32_e32 v4, 0xffff, v30
	v_lshlrev_b32_e32 v5, 4, v31
	s_delay_alu instid0(VALU_DEP_2) | instskip(NEXT) | instid1(VALU_DEP_1)
	v_mad_u32_u24 v4, 0x2a0, v4, 0
	v_add3_u32 v4, v4, v5, v29
	ds_store_b128 v4, v[0:3]
	ds_store_b128 v4, v[32:35] offset:96
	ds_store_b128 v4, v[20:23] offset:192
	;; [unrolled: 1-line block ×6, first 2 shown]
.LBB0_18:
	s_wait_alu 0xfffe
	s_or_b32 exec_lo, exec_lo, s10
	v_cmp_gt_u16_e32 vcc_lo, 42, v28
	global_wb scope:SCOPE_SE
	s_wait_dscnt 0x0
	s_barrier_signal -1
	s_barrier_wait -1
	global_inv scope:SCOPE_SE
                                        ; implicit-def: $vgpr126_vgpr127
	s_and_saveexec_b32 s10, vcc_lo
	s_cbranch_execz .LBB0_20
; %bb.19:
	ds_load_b128 v[0:3], v138
	ds_load_b128 v[32:35], v137 offset:672
	ds_load_b128 v[20:23], v137 offset:1344
	ds_load_b128 v[56:59], v137 offset:2016
	ds_load_b128 v[72:75], v137 offset:2688
	ds_load_b128 v[68:71], v137 offset:3360
	ds_load_b128 v[80:83], v137 offset:4032
	ds_load_b128 v[124:127], v137 offset:4704
.LBB0_20:
	s_wait_alu 0xfffe
	s_or_b32 exec_lo, exec_lo, s10
	v_subrev_nc_u32_e32 v4, 42, v28
	s_delay_alu instid0(VALU_DEP_1) | instskip(NEXT) | instid1(VALU_DEP_1)
	v_cndmask_b32_e32 v139, v4, v28, vcc_lo
	v_mul_lo_u32 v4, v60, v139
	v_add_nc_u32_e32 v5, 42, v139
	v_add_nc_u32_e32 v7, 0x7e, v139
	s_delay_alu instid0(VALU_DEP_2) | instskip(NEXT) | instid1(VALU_DEP_2)
	v_mul_lo_u32 v5, v60, v5
	v_mul_lo_u32 v16, v60, v7
	v_and_b32_e32 v9, 0xff, v4
	v_lshrrev_b32_e32 v10, 4, v4
	v_lshrrev_b32_e32 v4, 12, v4
	s_delay_alu instid0(VALU_DEP_3) | instskip(NEXT) | instid1(VALU_DEP_3)
	v_lshlrev_b32_e32 v7, 4, v9
	v_and_b32_e32 v9, 0xff0, v10
	v_and_b32_e32 v10, 0xff, v5
	v_add_nc_u32_e32 v6, 0x54, v139
	v_add_nc_u32_e32 v8, 0xa8, v139
	v_lshrrev_b32_e32 v11, 4, v5
	v_lshrrev_b32_e32 v5, 12, v5
	v_and_b32_e32 v14, 0xff, v16
	v_mul_lo_u32 v6, v60, v6
	v_mul_lo_u32 v61, v60, v8
	v_add_nc_u32_e32 v65, 0xfc, v139
	v_and_b32_e32 v4, 0xff0, v4
	s_clause 0x1
	global_load_b128 v[24:27], v7, s[8:9]
	global_load_b128 v[28:31], v9, s[8:9] offset:4096
	v_lshlrev_b32_e32 v9, 4, v10
	v_and_b32_e32 v10, 0xff0, v11
	v_and_b32_e32 v11, 0xff0, v5
	;; [unrolled: 1-line block ×3, first 2 shown]
	v_lshrrev_b32_e32 v13, 4, v6
	v_lshrrev_b32_e32 v6, 12, v6
	v_add_nc_u32_e32 v19, 0xd2, v139
	v_lshlrev_b32_e32 v17, 4, v14
	v_lshlrev_b32_e32 v12, 4, v12
	v_and_b32_e32 v13, 0xff0, v13
	v_and_b32_e32 v15, 0xff0, v6
	v_mul_lo_u32 v84, v60, v65
	v_add_nc_u32_e32 v65, 0x126, v139
	s_clause 0x7
	global_load_b128 v[4:7], v4, s[8:9] offset:8192
	global_load_b128 v[36:39], v9, s[8:9]
	global_load_b128 v[40:43], v10, s[8:9] offset:4096
	global_load_b128 v[8:11], v11, s[8:9] offset:8192
	global_load_b128 v[44:47], v12, s[8:9]
	global_load_b128 v[48:51], v13, s[8:9] offset:4096
	global_load_b128 v[12:15], v15, s[8:9] offset:8192
	global_load_b128 v[52:55], v17, s[8:9]
	v_lshrrev_b32_e32 v17, 4, v16
	v_and_b32_e32 v18, 0xff, v61
	v_lshrrev_b32_e32 v16, 12, v16
	v_lshrrev_b32_e32 v62, 4, v61
	v_mul_lo_u32 v64, v60, v19
	v_mul_lo_u32 v86, v60, v65
	v_and_b32_e32 v17, 0xff0, v17
	v_lshlrev_b32_e32 v63, 4, v18
	v_and_b32_e32 v16, 0xff0, v16
	v_and_b32_e32 v62, 0xff0, v62
	v_lshrrev_b32_e32 v61, 12, v61
	v_and_b32_e32 v85, 0xff, v84
	s_clause 0x3
	global_load_b128 v[76:79], v17, s[8:9] offset:4096
	global_load_b128 v[16:19], v16, s[8:9] offset:8192
	global_load_b128 v[92:95], v63, s[8:9]
	global_load_b128 v[96:99], v62, s[8:9] offset:4096
	v_and_b32_e32 v62, 0xff, v64
	v_lshrrev_b32_e32 v87, 4, v84
	v_lshrrev_b32_e32 v63, 4, v64
	;; [unrolled: 1-line block ×4, first 2 shown]
	v_and_b32_e32 v88, 0xff, v86
	v_lshrrev_b32_e32 v89, 4, v86
	v_lshrrev_b32_e32 v86, 12, v86
	v_and_b32_e32 v61, 0xff0, v61
	v_lshlrev_b32_e32 v85, 4, v85
	v_lshlrev_b32_e32 v66, 4, v62
	v_and_b32_e32 v87, 0xff0, v87
	v_and_b32_e32 v67, 0xff0, v63
	;; [unrolled: 1-line block ×4, first 2 shown]
	v_lshlrev_b32_e32 v88, 4, v88
	v_and_b32_e32 v89, 0xff0, v89
	v_and_b32_e32 v90, 0xff0, v86
	s_clause 0x9
	global_load_b128 v[60:63], v61, s[8:9] offset:8192
	global_load_b128 v[100:103], v66, s[8:9]
	global_load_b128 v[104:107], v67, s[8:9] offset:4096
	global_load_b128 v[64:67], v64, s[8:9] offset:8192
	global_load_b128 v[108:111], v85, s[8:9]
	global_load_b128 v[112:115], v87, s[8:9] offset:4096
	;; [unrolled: 3-line block ×3, first 2 shown]
	global_load_b128 v[88:91], v90, s[8:9] offset:8192
	global_wb scope:SCOPE_SE
	s_wait_loadcnt_dscnt 0x0
	s_barrier_signal -1
	s_barrier_wait -1
	global_inv scope:SCOPE_SE
	s_and_saveexec_b32 s8, vcc_lo
	s_cbranch_execz .LBB0_22
; %bb.21:
	v_mul_i32_i24_e32 v139, 7, v139
	v_mov_b32_e32 v140, 0
	s_mov_b32 s10, 0x667f3bcd
	s_mov_b32 s11, 0x3fe6a09e
	;; [unrolled: 1-line block ×3, first 2 shown]
	s_wait_alu 0xfffe
	s_mov_b32 s14, s10
	v_lshlrev_b64_e32 v[139:140], 4, v[139:140]
	s_delay_alu instid0(VALU_DEP_1) | instskip(SKIP_1) | instid1(VALU_DEP_2)
	v_add_co_u32 v163, vcc_lo, s16, v139
	s_wait_alu 0xfffd
	v_add_co_ci_u32_e32 v164, vcc_lo, s17, v140, vcc_lo
	s_clause 0x6
	global_load_b128 v[139:142], v[163:164], off offset:576
	global_load_b128 v[143:146], v[163:164], off offset:608
	;; [unrolled: 1-line block ×7, first 2 shown]
	s_wait_loadcnt 0x6
	v_mul_f64_e32 v[167:168], v[34:35], v[141:142]
	v_mul_f64_e32 v[141:142], v[32:33], v[141:142]
	s_wait_loadcnt 0x5
	v_mul_f64_e32 v[169:170], v[56:57], v[145:146]
	s_delay_alu instid0(VALU_DEP_3) | instskip(NEXT) | instid1(VALU_DEP_3)
	v_fma_f64 v[32:33], v[32:33], v[139:140], -v[167:168]
	v_fma_f64 v[34:35], v[34:35], v[139:140], v[141:142]
	v_mul_f64_e32 v[139:140], v[58:59], v[145:146]
	s_wait_loadcnt 0x4
	v_mul_f64_e32 v[141:142], v[72:73], v[149:150]
	v_mul_f64_e32 v[145:146], v[74:75], v[149:150]
	s_wait_loadcnt 0x3
	v_mul_f64_e32 v[149:150], v[70:71], v[153:154]
	v_fma_f64 v[58:59], v[58:59], v[143:144], v[169:170]
	s_wait_loadcnt 0x0
	v_mul_f64_e32 v[167:168], v[80:81], v[165:166]
	v_fma_f64 v[56:57], v[56:57], v[143:144], -v[139:140]
	v_mul_f64_e32 v[139:140], v[124:125], v[157:158]
	v_mul_f64_e32 v[143:144], v[126:127], v[157:158]
	;; [unrolled: 1-line block ×3, first 2 shown]
	v_fma_f64 v[74:75], v[74:75], v[147:148], v[141:142]
	v_fma_f64 v[72:73], v[72:73], v[147:148], -v[145:146]
	v_mul_f64_e32 v[141:142], v[22:23], v[161:162]
	v_mul_f64_e32 v[145:146], v[82:83], v[165:166]
	;; [unrolled: 1-line block ×3, first 2 shown]
	v_fma_f64 v[68:69], v[68:69], v[151:152], -v[149:150]
	v_fma_f64 v[82:83], v[82:83], v[163:164], v[167:168]
	v_mul_f64_e32 v[149:150], v[46:47], v[50:51]
	v_mul_f64_e32 v[153:154], v[26:27], v[30:31]
	;; [unrolled: 1-line block ×4, first 2 shown]
	v_fma_f64 v[126:127], v[126:127], v[155:156], v[139:140]
	v_fma_f64 v[124:125], v[124:125], v[155:156], -v[143:144]
	v_fma_f64 v[22:23], v[22:23], v[159:160], v[157:158]
	v_add_f64_e64 v[74:75], v[2:3], -v[74:75]
	v_add_f64_e64 v[72:73], v[0:1], -v[72:73]
	v_fma_f64 v[20:21], v[20:21], v[159:160], -v[141:142]
	v_fma_f64 v[80:81], v[80:81], v[163:164], -v[145:146]
	v_fma_f64 v[70:71], v[70:71], v[151:152], v[147:148]
	v_add_f64_e64 v[68:69], v[32:33], -v[68:69]
	v_mul_f64_e32 v[143:144], v[102:103], v[106:107]
	v_mul_f64_e32 v[145:146], v[94:95], v[98:99]
	;; [unrolled: 1-line block ×9, first 2 shown]
	v_fma_f64 v[44:45], v[44:45], v[48:49], -v[149:150]
	v_fma_f64 v[24:25], v[24:25], v[28:29], -v[153:154]
	v_mul_f64_e32 v[114:115], v[108:109], v[114:115]
	v_fma_f64 v[46:47], v[46:47], v[48:49], v[50:51]
	v_fma_f64 v[26:27], v[26:27], v[28:29], v[30:31]
	v_add_f64_e64 v[126:127], v[58:59], -v[126:127]
	v_add_f64_e64 v[124:125], v[56:57], -v[124:125]
	;; [unrolled: 1-line block ×3, first 2 shown]
	v_fma_f64 v[2:3], v[2:3], 2.0, -v[74:75]
	v_fma_f64 v[0:1], v[0:1], 2.0, -v[72:73]
	v_add_f64_e64 v[80:81], v[20:21], -v[80:81]
	v_add_f64_e64 v[70:71], v[34:35], -v[70:71]
	v_fma_f64 v[32:33], v[32:33], 2.0, -v[68:69]
	v_fma_f64 v[100:101], v[100:101], v[104:105], -v[143:144]
	v_fma_f64 v[92:93], v[92:93], v[96:97], -v[145:146]
	;; [unrolled: 1-line block ×5, first 2 shown]
	v_fma_f64 v[102:103], v[102:103], v[104:105], v[106:107]
	v_fma_f64 v[94:95], v[94:95], v[96:97], v[98:99]
	;; [unrolled: 1-line block ×4, first 2 shown]
	v_mul_f64_e32 v[50:51], v[44:45], v[14:15]
	v_mul_f64_e32 v[78:79], v[24:25], v[6:7]
	v_fma_f64 v[110:111], v[110:111], v[112:113], v[114:115]
	v_mul_f64_e32 v[14:15], v[46:47], v[14:15]
	v_mul_f64_e32 v[6:7], v[26:27], v[6:7]
	v_fma_f64 v[58:59], v[58:59], 2.0, -v[126:127]
	v_fma_f64 v[56:57], v[56:57], 2.0, -v[124:125]
	;; [unrolled: 1-line block ×3, first 2 shown]
	v_add_f64_e64 v[139:140], v[68:69], -v[126:127]
	v_add_f64_e64 v[82:83], v[72:73], -v[82:83]
	v_mul_f64_e32 v[126:127], v[118:119], v[122:123]
	v_fma_f64 v[20:21], v[20:21], 2.0, -v[80:81]
	v_fma_f64 v[34:35], v[34:35], 2.0, -v[70:71]
	v_add_f64_e32 v[80:81], v[74:75], v[80:81]
	v_add_f64_e32 v[124:125], v[70:71], v[124:125]
	v_mul_f64_e32 v[122:123], v[116:117], v[122:123]
	v_mul_f64_e32 v[40:41], v[100:101], v[66:67]
	;; [unrolled: 1-line block ×8, first 2 shown]
	v_fma_f64 v[46:47], v[12:13], v[46:47], v[50:51]
	v_mul_f64_e32 v[66:67], v[102:103], v[66:67]
	v_mul_f64_e32 v[62:63], v[94:95], v[62:63]
	v_fma_f64 v[26:27], v[4:5], v[26:27], v[78:79]
	v_mul_f64_e32 v[86:87], v[110:111], v[86:87]
	v_fma_f64 v[44:45], v[12:13], v[44:45], -v[14:15]
	v_fma_f64 v[4:5], v[4:5], v[24:25], -v[6:7]
	v_add_f64_e64 v[56:57], v[32:33], -v[56:57]
	v_add_f64_e64 v[22:23], v[2:3], -v[22:23]
	v_fma_f64 v[68:69], v[68:69], 2.0, -v[139:140]
	v_fma_f64 v[72:73], v[72:73], 2.0, -v[82:83]
	v_fma_f64 v[116:117], v[116:117], v[120:121], -v[126:127]
	v_add_f64_e64 v[20:21], v[0:1], -v[20:21]
	v_add_f64_e64 v[58:59], v[34:35], -v[58:59]
	v_fma_f64 v[74:75], v[74:75], 2.0, -v[80:81]
	v_fma_f64 v[70:71], v[70:71], 2.0, -v[124:125]
	v_fma_f64 v[118:119], v[118:119], v[120:121], v[122:123]
	v_fma_f64 v[120:121], v[139:140], s[10:11], v[82:83]
	;; [unrolled: 1-line block ×8, first 2 shown]
	v_fma_f64 v[16:17], v[16:17], v[52:53], -v[18:19]
	v_fma_f64 v[36:37], v[8:9], v[36:37], -v[10:11]
	;; [unrolled: 1-line block ×4, first 2 shown]
	v_fma_f64 v[32:33], v[32:33], 2.0, -v[56:57]
	v_fma_f64 v[2:3], v[2:3], 2.0, -v[22:23]
	v_add_f64_e32 v[56:57], v[22:23], v[56:57]
	s_wait_alu 0xfffe
	v_fma_f64 v[126:127], v[68:69], s[14:15], v[72:73]
	v_mul_f64_e32 v[28:29], v[116:117], v[90:91]
	v_fma_f64 v[0:1], v[0:1], 2.0, -v[20:21]
	v_fma_f64 v[34:35], v[34:35], 2.0, -v[58:59]
	v_add_f64_e64 v[58:59], v[20:21], -v[58:59]
	v_fma_f64 v[141:142], v[70:71], s[14:15], v[74:75]
	v_mul_f64_e32 v[90:91], v[118:119], v[90:91]
	v_fma_f64 v[96:97], v[124:125], s[14:15], v[120:121]
	v_fma_f64 v[98:99], v[139:140], s[10:11], v[122:123]
	v_fma_f64 v[22:23], v[22:23], 2.0, -v[56:57]
	v_fma_f64 v[70:71], v[70:71], s[14:15], v[126:127]
	v_fma_f64 v[28:29], v[88:89], v[118:119], v[28:29]
	v_add_f64_e64 v[32:33], v[0:1], -v[32:33]
	v_add_f64_e64 v[34:35], v[2:3], -v[34:35]
	v_fma_f64 v[20:21], v[20:21], 2.0, -v[58:59]
	v_fma_f64 v[68:69], v[68:69], s[10:11], v[141:142]
	v_mul_f64_e32 v[6:7], v[58:59], v[30:31]
	v_fma_f64 v[50:51], v[82:83], 2.0, -v[96:97]
	v_fma_f64 v[54:55], v[80:81], 2.0, -v[98:99]
	v_fma_f64 v[80:81], v[84:85], v[108:109], -v[86:87]
	v_mul_f64_e32 v[66:67], v[56:57], v[30:31]
	v_fma_f64 v[78:79], v[88:89], v[116:117], -v[90:91]
	v_fma_f64 v[72:73], v[72:73], 2.0, -v[70:71]
	v_mul_f64_e32 v[8:9], v[70:71], v[40:41]
	v_fma_f64 v[0:1], v[0:1], 2.0, -v[32:33]
	v_fma_f64 v[76:77], v[2:3], 2.0, -v[34:35]
	v_mul_f64_e32 v[14:15], v[32:33], v[42:43]
	v_fma_f64 v[74:75], v[74:75], 2.0, -v[68:69]
	v_mul_f64_e32 v[12:13], v[68:69], v[40:41]
	v_mul_f64_e32 v[18:19], v[34:35], v[42:43]
	;; [unrolled: 1-line block ×8, first 2 shown]
	v_fma_f64 v[6:7], v[56:57], v[80:81], v[6:7]
	v_mul_f64_e32 v[48:49], v[72:73], v[38:39]
	v_fma_f64 v[10:11], v[68:69], v[64:65], v[8:9]
	v_mul_f64_e32 v[52:53], v[0:1], v[26:27]
	v_mul_f64_e32 v[62:63], v[76:77], v[26:27]
	v_fma_f64 v[14:15], v[34:35], v[60:61], v[14:15]
	v_mul_f64_e32 v[38:39], v[74:75], v[38:39]
	v_fma_f64 v[8:9], v[70:71], v[64:65], -v[12:13]
	v_fma_f64 v[12:13], v[32:33], v[60:61], -v[18:19]
	v_fma_f64 v[22:23], v[22:23], v[44:45], v[40:41]
	v_fma_f64 v[20:21], v[20:21], v[44:45], -v[42:43]
	v_fma_f64 v[18:19], v[54:55], v[16:17], v[24:25]
	;; [unrolled: 2-line block ×3, first 2 shown]
	v_fma_f64 v[26:27], v[74:75], v[36:37], v[48:49]
	v_fma_f64 v[30:31], v[76:77], v[4:5], v[52:53]
	v_fma_f64 v[28:29], v[0:1], v[4:5], -v[62:63]
	v_fma_f64 v[4:5], v[58:59], v[80:81], -v[66:67]
	v_fma_f64 v[24:25], v[72:73], v[36:37], -v[38:39]
	v_fma_f64 v[0:1], v[96:97], v[78:79], -v[82:83]
	ds_store_b128 v137, v[20:23] offset:1344
	ds_store_b128 v137, v[16:19] offset:2016
	;; [unrolled: 1-line block ×4, first 2 shown]
	ds_store_b128 v138, v[28:31]
	ds_store_b128 v137, v[24:27] offset:672
	ds_store_b128 v137, v[4:7] offset:4032
	;; [unrolled: 1-line block ×3, first 2 shown]
.LBB0_22:
	s_wait_alu 0xfffe
	s_or_b32 exec_lo, exec_lo, s8
	global_wb scope:SCOPE_SE
	s_wait_dscnt 0x0
	s_barrier_signal -1
	s_barrier_wait -1
	global_inv scope:SCOPE_SE
	s_and_saveexec_b32 s8, s12
	s_cbranch_execz .LBB0_24
; %bb.23:
	v_mad_co_u64_u32 v[8:9], null, s4, v132, 0
	v_mad_co_u64_u32 v[0:1], null, s6, v134, 0
	;; [unrolled: 1-line block ×3, first 2 shown]
	v_add3_u32 v25, 0, v136, v135
	s_lshl_b64 s[2:3], s[2:3], 4
	s_delay_alu instid0(VALU_DEP_4)
	v_mov_b32_e32 v2, v9
	v_mad_co_u64_u32 v[12:13], null, s4, v131, 0
	s_wait_alu 0xfffe
	s_add_nc_u64 s[0:1], s[0:1], s[2:3]
	v_mad_co_u64_u32 v[18:19], null, s4, v128, 0
	v_mad_co_u64_u32 v[3:4], null, s7, v134, v[1:2]
	s_delay_alu instid0(VALU_DEP_1) | instskip(SKIP_1) | instid1(VALU_DEP_1)
	v_mov_b32_e32 v1, v3
	v_mad_co_u64_u32 v[4:5], null, s5, v132, v[2:3]
	v_dual_mov_b32 v2, v11 :: v_dual_mov_b32 v9, v4
	s_delay_alu instid0(VALU_DEP_1) | instskip(NEXT) | instid1(VALU_DEP_4)
	v_mad_co_u64_u32 v[14:15], null, s5, v133, v[2:3]
	v_lshlrev_b64_e32 v[15:16], 4, v[0:1]
	ds_load_b128 v[0:3], v25
	ds_load_b128 v[4:7], v25 offset:896
	v_lshlrev_b64_e32 v[8:9], 4, v[8:9]
	v_mov_b32_e32 v11, v14
	v_add_co_u32 v26, vcc_lo, s0, v15
	s_wait_alu 0xfffd
	v_add_co_ci_u32_e32 v27, vcc_lo, s1, v16, vcc_lo
	s_delay_alu instid0(VALU_DEP_3) | instskip(NEXT) | instid1(VALU_DEP_3)
	v_lshlrev_b64_e32 v[10:11], 4, v[10:11]
	v_add_co_u32 v8, vcc_lo, v26, v8
	v_mad_co_u64_u32 v[13:14], null, s5, v131, v[13:14]
	v_mad_co_u64_u32 v[14:15], null, s4, v129, 0
	;; [unrolled: 1-line block ×3, first 2 shown]
	s_wait_alu 0xfffd
	v_add_co_ci_u32_e32 v9, vcc_lo, v27, v9, vcc_lo
	v_add_co_u32 v10, vcc_lo, v26, v10
	s_wait_alu 0xfffd
	v_add_co_ci_u32_e32 v11, vcc_lo, v27, v11, vcc_lo
	s_wait_dscnt 0x1
	global_store_b128 v[8:9], v[0:3], off
	s_wait_dscnt 0x0
	global_store_b128 v[10:11], v[4:7], off
	v_dual_mov_b32 v0, v15 :: v_dual_mov_b32 v1, v17
	v_lshlrev_b64_e32 v[2:3], 4, v[12:13]
	s_delay_alu instid0(VALU_DEP_2) | instskip(NEXT) | instid1(VALU_DEP_2)
	v_mad_co_u64_u32 v[4:5], null, s5, v129, v[0:1]
	v_mad_co_u64_u32 v[0:1], null, s5, v130, v[1:2]
	v_mov_b32_e32 v1, v19
	v_add_co_u32 v20, vcc_lo, v26, v2
	s_wait_alu 0xfffd
	v_add_co_ci_u32_e32 v21, vcc_lo, v27, v3, vcc_lo
	v_mov_b32_e32 v15, v4
	v_mad_co_u64_u32 v[22:23], null, s5, v128, v[1:2]
	v_mov_b32_e32 v17, v0
	ds_load_b128 v[0:3], v25 offset:1792
	ds_load_b128 v[4:7], v25 offset:2688
	v_lshlrev_b64_e32 v[23:24], 4, v[14:15]
	ds_load_b128 v[8:11], v25 offset:3584
	ds_load_b128 v[12:15], v25 offset:4480
	v_lshlrev_b64_e32 v[16:17], 4, v[16:17]
	v_mov_b32_e32 v19, v22
	v_add_co_u32 v22, vcc_lo, v26, v23
	s_wait_alu 0xfffd
	v_add_co_ci_u32_e32 v23, vcc_lo, v27, v24, vcc_lo
	s_delay_alu instid0(VALU_DEP_3) | instskip(SKIP_3) | instid1(VALU_DEP_3)
	v_lshlrev_b64_e32 v[18:19], 4, v[18:19]
	v_add_co_u32 v16, vcc_lo, v26, v16
	s_wait_alu 0xfffd
	v_add_co_ci_u32_e32 v17, vcc_lo, v27, v17, vcc_lo
	v_add_co_u32 v18, vcc_lo, v26, v18
	s_wait_alu 0xfffd
	v_add_co_ci_u32_e32 v19, vcc_lo, v27, v19, vcc_lo
	s_wait_dscnt 0x3
	global_store_b128 v[20:21], v[0:3], off
	s_wait_dscnt 0x2
	global_store_b128 v[22:23], v[4:7], off
	s_wait_dscnt 0x1
	global_store_b128 v[16:17], v[8:11], off
	s_wait_dscnt 0x0
	global_store_b128 v[18:19], v[12:15], off
.LBB0_24:
	s_nop 0
	s_sendmsg sendmsg(MSG_DEALLOC_VGPRS)
	s_endpgm
	.section	.rodata,"a",@progbits
	.p2align	6, 0x0
	.amdhsa_kernel fft_rtc_fwd_len336_factors_6_7_8_wgs_336_tpt_56_dp_ip_CI_sbcc_twdbase8_3step
		.amdhsa_group_segment_fixed_size 0
		.amdhsa_private_segment_fixed_size 0
		.amdhsa_kernarg_size 96
		.amdhsa_user_sgpr_count 2
		.amdhsa_user_sgpr_dispatch_ptr 0
		.amdhsa_user_sgpr_queue_ptr 0
		.amdhsa_user_sgpr_kernarg_segment_ptr 1
		.amdhsa_user_sgpr_dispatch_id 0
		.amdhsa_user_sgpr_private_segment_size 0
		.amdhsa_wavefront_size32 1
		.amdhsa_uses_dynamic_stack 0
		.amdhsa_enable_private_segment 0
		.amdhsa_system_sgpr_workgroup_id_x 1
		.amdhsa_system_sgpr_workgroup_id_y 0
		.amdhsa_system_sgpr_workgroup_id_z 0
		.amdhsa_system_sgpr_workgroup_info 0
		.amdhsa_system_vgpr_workitem_id 0
		.amdhsa_next_free_vgpr 171
		.amdhsa_next_free_sgpr 51
		.amdhsa_reserve_vcc 1
		.amdhsa_float_round_mode_32 0
		.amdhsa_float_round_mode_16_64 0
		.amdhsa_float_denorm_mode_32 3
		.amdhsa_float_denorm_mode_16_64 3
		.amdhsa_fp16_overflow 0
		.amdhsa_workgroup_processor_mode 1
		.amdhsa_memory_ordered 1
		.amdhsa_forward_progress 0
		.amdhsa_round_robin_scheduling 0
		.amdhsa_exception_fp_ieee_invalid_op 0
		.amdhsa_exception_fp_denorm_src 0
		.amdhsa_exception_fp_ieee_div_zero 0
		.amdhsa_exception_fp_ieee_overflow 0
		.amdhsa_exception_fp_ieee_underflow 0
		.amdhsa_exception_fp_ieee_inexact 0
		.amdhsa_exception_int_div_zero 0
	.end_amdhsa_kernel
	.text
.Lfunc_end0:
	.size	fft_rtc_fwd_len336_factors_6_7_8_wgs_336_tpt_56_dp_ip_CI_sbcc_twdbase8_3step, .Lfunc_end0-fft_rtc_fwd_len336_factors_6_7_8_wgs_336_tpt_56_dp_ip_CI_sbcc_twdbase8_3step
                                        ; -- End function
	.section	.AMDGPU.csdata,"",@progbits
; Kernel info:
; codeLenInByte = 7276
; NumSgprs: 53
; NumVgprs: 171
; ScratchSize: 0
; MemoryBound: 0
; FloatMode: 240
; IeeeMode: 1
; LDSByteSize: 0 bytes/workgroup (compile time only)
; SGPRBlocks: 6
; VGPRBlocks: 21
; NumSGPRsForWavesPerEU: 53
; NumVGPRsForWavesPerEU: 171
; Occupancy: 8
; WaveLimiterHint : 1
; COMPUTE_PGM_RSRC2:SCRATCH_EN: 0
; COMPUTE_PGM_RSRC2:USER_SGPR: 2
; COMPUTE_PGM_RSRC2:TRAP_HANDLER: 0
; COMPUTE_PGM_RSRC2:TGID_X_EN: 1
; COMPUTE_PGM_RSRC2:TGID_Y_EN: 0
; COMPUTE_PGM_RSRC2:TGID_Z_EN: 0
; COMPUTE_PGM_RSRC2:TIDIG_COMP_CNT: 0
	.text
	.p2alignl 7, 3214868480
	.fill 96, 4, 3214868480
	.type	__hip_cuid_ac6362a975782bc0,@object ; @__hip_cuid_ac6362a975782bc0
	.section	.bss,"aw",@nobits
	.globl	__hip_cuid_ac6362a975782bc0
__hip_cuid_ac6362a975782bc0:
	.byte	0                               ; 0x0
	.size	__hip_cuid_ac6362a975782bc0, 1

	.ident	"AMD clang version 19.0.0git (https://github.com/RadeonOpenCompute/llvm-project roc-6.4.0 25133 c7fe45cf4b819c5991fe208aaa96edf142730f1d)"
	.section	".note.GNU-stack","",@progbits
	.addrsig
	.addrsig_sym __hip_cuid_ac6362a975782bc0
	.amdgpu_metadata
---
amdhsa.kernels:
  - .args:
      - .actual_access:  read_only
        .address_space:  global
        .offset:         0
        .size:           8
        .value_kind:     global_buffer
      - .address_space:  global
        .offset:         8
        .size:           8
        .value_kind:     global_buffer
      - .offset:         16
        .size:           8
        .value_kind:     by_value
      - .actual_access:  read_only
        .address_space:  global
        .offset:         24
        .size:           8
        .value_kind:     global_buffer
      - .actual_access:  read_only
        .address_space:  global
        .offset:         32
        .size:           8
        .value_kind:     global_buffer
      - .offset:         40
        .size:           8
        .value_kind:     by_value
      - .actual_access:  read_only
        .address_space:  global
        .offset:         48
        .size:           8
        .value_kind:     global_buffer
      - .actual_access:  read_only
        .address_space:  global
        .offset:         56
        .size:           8
        .value_kind:     global_buffer
      - .offset:         64
        .size:           4
        .value_kind:     by_value
      - .actual_access:  read_only
        .address_space:  global
        .offset:         72
        .size:           8
        .value_kind:     global_buffer
      - .actual_access:  read_only
        .address_space:  global
        .offset:         80
        .size:           8
        .value_kind:     global_buffer
      - .address_space:  global
        .offset:         88
        .size:           8
        .value_kind:     global_buffer
    .group_segment_fixed_size: 0
    .kernarg_segment_align: 8
    .kernarg_segment_size: 96
    .language:       OpenCL C
    .language_version:
      - 2
      - 0
    .max_flat_workgroup_size: 336
    .name:           fft_rtc_fwd_len336_factors_6_7_8_wgs_336_tpt_56_dp_ip_CI_sbcc_twdbase8_3step
    .private_segment_fixed_size: 0
    .sgpr_count:     53
    .sgpr_spill_count: 0
    .symbol:         fft_rtc_fwd_len336_factors_6_7_8_wgs_336_tpt_56_dp_ip_CI_sbcc_twdbase8_3step.kd
    .uniform_work_group_size: 1
    .uses_dynamic_stack: false
    .vgpr_count:     171
    .vgpr_spill_count: 0
    .wavefront_size: 32
    .workgroup_processor_mode: 1
amdhsa.target:   amdgcn-amd-amdhsa--gfx1201
amdhsa.version:
  - 1
  - 2
...

	.end_amdgpu_metadata
